;; amdgpu-corpus repo=ROCm/rocFFT kind=compiled arch=gfx950 opt=O3
	.text
	.amdgcn_target "amdgcn-amd-amdhsa--gfx950"
	.amdhsa_code_object_version 6
	.protected	fft_rtc_back_len1944_factors_3_3_3_3_8_3_wgs_243_tpt_243_halfLds_sp_op_CI_CI_unitstride_sbrr_C2R_dirReg ; -- Begin function fft_rtc_back_len1944_factors_3_3_3_3_8_3_wgs_243_tpt_243_halfLds_sp_op_CI_CI_unitstride_sbrr_C2R_dirReg
	.globl	fft_rtc_back_len1944_factors_3_3_3_3_8_3_wgs_243_tpt_243_halfLds_sp_op_CI_CI_unitstride_sbrr_C2R_dirReg
	.p2align	8
	.type	fft_rtc_back_len1944_factors_3_3_3_3_8_3_wgs_243_tpt_243_halfLds_sp_op_CI_CI_unitstride_sbrr_C2R_dirReg,@function
fft_rtc_back_len1944_factors_3_3_3_3_8_3_wgs_243_tpt_243_halfLds_sp_op_CI_CI_unitstride_sbrr_C2R_dirReg: ; @fft_rtc_back_len1944_factors_3_3_3_3_8_3_wgs_243_tpt_243_halfLds_sp_op_CI_CI_unitstride_sbrr_C2R_dirReg
; %bb.0:
	s_load_dwordx4 s[4:7], s[0:1], 0x58
	s_load_dwordx4 s[8:11], s[0:1], 0x0
	;; [unrolled: 1-line block ×3, first 2 shown]
	v_mul_u32_u24_e32 v1, 0x10e, v0
	v_add_u32_sdwa v6, s2, v1 dst_sel:DWORD dst_unused:UNUSED_PAD src0_sel:DWORD src1_sel:WORD_1
	v_mov_b32_e32 v4, 0
	s_waitcnt lgkmcnt(0)
	v_cmp_lt_u64_e64 s[2:3], s[10:11], 2
	v_mov_b32_e32 v7, v4
	s_and_b64 vcc, exec, s[2:3]
	v_mov_b64_e32 v[2:3], 0
	s_cbranch_vccnz .LBB0_8
; %bb.1:
	s_load_dwordx2 s[2:3], s[0:1], 0x10
	s_add_u32 s16, s14, 8
	s_addc_u32 s17, s15, 0
	s_add_u32 s18, s12, 8
	s_addc_u32 s19, s13, 0
	s_waitcnt lgkmcnt(0)
	s_add_u32 s20, s2, 8
	v_mov_b64_e32 v[2:3], 0
	s_addc_u32 s21, s3, 0
	s_mov_b64 s[22:23], 1
	v_mov_b64_e32 v[12:13], v[2:3]
.LBB0_2:                                ; =>This Inner Loop Header: Depth=1
	s_load_dwordx2 s[24:25], s[20:21], 0x0
                                        ; implicit-def: $vgpr14_vgpr15
	s_waitcnt lgkmcnt(0)
	v_or_b32_e32 v5, s25, v7
	v_cmp_ne_u64_e32 vcc, 0, v[4:5]
	s_and_saveexec_b64 s[2:3], vcc
	s_xor_b64 s[26:27], exec, s[2:3]
	s_cbranch_execz .LBB0_4
; %bb.3:                                ;   in Loop: Header=BB0_2 Depth=1
	v_cvt_f32_u32_e32 v1, s24
	v_cvt_f32_u32_e32 v5, s25
	s_sub_u32 s2, 0, s24
	s_subb_u32 s3, 0, s25
	v_fmac_f32_e32 v1, 0x4f800000, v5
	v_rcp_f32_e32 v1, v1
	s_nop 0
	v_mul_f32_e32 v1, 0x5f7ffffc, v1
	v_mul_f32_e32 v5, 0x2f800000, v1
	v_trunc_f32_e32 v5, v5
	v_fmac_f32_e32 v1, 0xcf800000, v5
	v_cvt_u32_f32_e32 v5, v5
	v_cvt_u32_f32_e32 v1, v1
	v_mul_lo_u32 v8, s2, v5
	v_mul_hi_u32 v10, s2, v1
	v_mul_lo_u32 v9, s3, v1
	v_add_u32_e32 v10, v10, v8
	v_mul_lo_u32 v14, s2, v1
	v_add_u32_e32 v15, v10, v9
	v_mul_hi_u32 v8, v1, v14
	v_mul_hi_u32 v11, v1, v15
	v_mul_lo_u32 v10, v1, v15
	v_mov_b32_e32 v9, v4
	v_lshl_add_u64 v[8:9], v[8:9], 0, v[10:11]
	v_mul_hi_u32 v11, v5, v14
	v_mul_lo_u32 v14, v5, v14
	v_add_co_u32_e32 v8, vcc, v8, v14
	v_mul_hi_u32 v10, v5, v15
	s_nop 0
	v_addc_co_u32_e32 v8, vcc, v9, v11, vcc
	v_mov_b32_e32 v9, v4
	s_nop 0
	v_addc_co_u32_e32 v11, vcc, 0, v10, vcc
	v_mul_lo_u32 v10, v5, v15
	v_lshl_add_u64 v[8:9], v[8:9], 0, v[10:11]
	v_add_co_u32_e32 v1, vcc, v1, v8
	v_mul_lo_u32 v10, s2, v1
	s_nop 0
	v_addc_co_u32_e32 v5, vcc, v5, v9, vcc
	v_mul_lo_u32 v8, s2, v5
	v_mul_hi_u32 v9, s2, v1
	v_add_u32_e32 v8, v9, v8
	v_mul_lo_u32 v9, s3, v1
	v_add_u32_e32 v14, v8, v9
	v_mul_hi_u32 v16, v5, v10
	v_mul_lo_u32 v17, v5, v10
	v_mul_hi_u32 v9, v1, v14
	v_mul_lo_u32 v8, v1, v14
	v_mul_hi_u32 v10, v1, v10
	v_mov_b32_e32 v11, v4
	v_lshl_add_u64 v[8:9], v[10:11], 0, v[8:9]
	v_add_co_u32_e32 v8, vcc, v8, v17
	v_mul_hi_u32 v15, v5, v14
	s_nop 0
	v_addc_co_u32_e32 v8, vcc, v9, v16, vcc
	v_mul_lo_u32 v10, v5, v14
	s_nop 0
	v_addc_co_u32_e32 v11, vcc, 0, v15, vcc
	v_mov_b32_e32 v9, v4
	v_lshl_add_u64 v[8:9], v[8:9], 0, v[10:11]
	v_add_co_u32_e32 v1, vcc, v1, v8
	v_mul_hi_u32 v10, v6, v1
	s_nop 0
	v_addc_co_u32_e32 v5, vcc, v5, v9, vcc
	v_mad_u64_u32 v[8:9], s[2:3], v6, v5, 0
	v_mov_b32_e32 v11, v4
	v_lshl_add_u64 v[8:9], v[10:11], 0, v[8:9]
	v_mad_u64_u32 v[14:15], s[2:3], v7, v1, 0
	v_add_co_u32_e32 v1, vcc, v8, v14
	v_mad_u64_u32 v[10:11], s[2:3], v7, v5, 0
	s_nop 0
	v_addc_co_u32_e32 v8, vcc, v9, v15, vcc
	v_mov_b32_e32 v9, v4
	s_nop 0
	v_addc_co_u32_e32 v11, vcc, 0, v11, vcc
	v_lshl_add_u64 v[8:9], v[8:9], 0, v[10:11]
	v_mul_lo_u32 v1, s25, v8
	v_mul_lo_u32 v5, s24, v9
	v_mad_u64_u32 v[10:11], s[2:3], s24, v8, 0
	v_add3_u32 v1, v11, v5, v1
	v_sub_u32_e32 v5, v7, v1
	v_mov_b32_e32 v11, s25
	v_sub_co_u32_e32 v16, vcc, v6, v10
	v_lshl_add_u64 v[14:15], v[8:9], 0, 1
	s_nop 0
	v_subb_co_u32_e64 v5, s[2:3], v5, v11, vcc
	v_subrev_co_u32_e64 v10, s[2:3], s24, v16
	v_subb_co_u32_e32 v1, vcc, v7, v1, vcc
	s_nop 0
	v_subbrev_co_u32_e64 v5, s[2:3], 0, v5, s[2:3]
	v_cmp_le_u32_e64 s[2:3], s25, v5
	v_cmp_le_u32_e32 vcc, s25, v1
	s_nop 0
	v_cndmask_b32_e64 v11, 0, -1, s[2:3]
	v_cmp_le_u32_e64 s[2:3], s24, v10
	s_nop 1
	v_cndmask_b32_e64 v10, 0, -1, s[2:3]
	v_cmp_eq_u32_e64 s[2:3], s25, v5
	s_nop 1
	v_cndmask_b32_e64 v5, v11, v10, s[2:3]
	v_lshl_add_u64 v[10:11], v[8:9], 0, 2
	v_cmp_ne_u32_e64 s[2:3], 0, v5
	s_nop 1
	v_cndmask_b32_e64 v5, v15, v11, s[2:3]
	v_cndmask_b32_e64 v11, 0, -1, vcc
	v_cmp_le_u32_e32 vcc, s24, v16
	s_nop 1
	v_cndmask_b32_e64 v15, 0, -1, vcc
	v_cmp_eq_u32_e32 vcc, s25, v1
	s_nop 1
	v_cndmask_b32_e32 v1, v11, v15, vcc
	v_cmp_ne_u32_e32 vcc, 0, v1
	v_cndmask_b32_e64 v1, v14, v10, s[2:3]
	s_nop 0
	v_cndmask_b32_e32 v15, v9, v5, vcc
	v_cndmask_b32_e32 v14, v8, v1, vcc
.LBB0_4:                                ;   in Loop: Header=BB0_2 Depth=1
	s_andn2_saveexec_b64 s[2:3], s[26:27]
	s_cbranch_execz .LBB0_6
; %bb.5:                                ;   in Loop: Header=BB0_2 Depth=1
	v_cvt_f32_u32_e32 v1, s24
	s_sub_i32 s26, 0, s24
	v_mov_b32_e32 v15, v4
	v_rcp_iflag_f32_e32 v1, v1
	s_nop 0
	v_mul_f32_e32 v1, 0x4f7ffffe, v1
	v_cvt_u32_f32_e32 v1, v1
	v_mul_lo_u32 v5, s26, v1
	v_mul_hi_u32 v5, v1, v5
	v_add_u32_e32 v1, v1, v5
	v_mul_hi_u32 v1, v6, v1
	v_mul_lo_u32 v5, v1, s24
	v_sub_u32_e32 v5, v6, v5
	v_add_u32_e32 v8, 1, v1
	v_subrev_u32_e32 v9, s24, v5
	v_cmp_le_u32_e32 vcc, s24, v5
	s_nop 1
	v_cndmask_b32_e32 v5, v5, v9, vcc
	v_cndmask_b32_e32 v1, v1, v8, vcc
	v_add_u32_e32 v8, 1, v1
	v_cmp_le_u32_e32 vcc, s24, v5
	s_nop 1
	v_cndmask_b32_e32 v14, v1, v8, vcc
.LBB0_6:                                ;   in Loop: Header=BB0_2 Depth=1
	s_or_b64 exec, exec, s[2:3]
	v_mad_u64_u32 v[8:9], s[2:3], v14, s24, 0
	s_load_dwordx2 s[2:3], s[18:19], 0x0
	v_mul_lo_u32 v1, v15, s24
	v_mul_lo_u32 v5, v14, s25
	s_load_dwordx2 s[24:25], s[16:17], 0x0
	s_add_u32 s22, s22, 1
	v_add3_u32 v1, v9, v5, v1
	v_sub_co_u32_e32 v5, vcc, v6, v8
	s_addc_u32 s23, s23, 0
	s_nop 0
	v_subb_co_u32_e32 v1, vcc, v7, v1, vcc
	s_add_u32 s16, s16, 8
	s_waitcnt lgkmcnt(0)
	v_mul_lo_u32 v6, s2, v1
	v_mul_lo_u32 v7, s3, v5
	v_mad_u64_u32 v[2:3], s[2:3], s2, v5, v[2:3]
	s_addc_u32 s17, s17, 0
	v_add3_u32 v3, v7, v3, v6
	v_mul_lo_u32 v1, s24, v1
	v_mul_lo_u32 v6, s25, v5
	v_mad_u64_u32 v[12:13], s[2:3], s24, v5, v[12:13]
	s_add_u32 s18, s18, 8
	v_add3_u32 v13, v6, v13, v1
	s_addc_u32 s19, s19, 0
	v_mov_b64_e32 v[6:7], s[10:11]
	s_add_u32 s20, s20, 8
	v_cmp_ge_u64_e32 vcc, s[22:23], v[6:7]
	s_addc_u32 s21, s21, 0
	s_cbranch_vccnz .LBB0_9
; %bb.7:                                ;   in Loop: Header=BB0_2 Depth=1
	v_mov_b64_e32 v[6:7], v[14:15]
	s_branch .LBB0_2
.LBB0_8:
	v_mov_b64_e32 v[12:13], v[2:3]
	v_mov_b64_e32 v[14:15], v[6:7]
.LBB0_9:
	s_load_dwordx2 s[2:3], s[0:1], 0x28
	s_lshl_b64 s[16:17], s[10:11], 3
	s_add_u32 s10, s14, s16
	s_addc_u32 s11, s15, s17
                                        ; implicit-def: $vgpr16
	s_waitcnt lgkmcnt(0)
	v_cmp_gt_u64_e64 s[0:1], s[2:3], v[14:15]
	v_cmp_le_u64_e32 vcc, s[2:3], v[14:15]
	s_and_saveexec_b64 s[2:3], vcc
	s_xor_b64 s[2:3], exec, s[2:3]
; %bb.10:
	s_mov_b32 s14, 0x10db20b
	v_mul_hi_u32 v1, v0, s14
	v_mul_u32_u24_e32 v1, 0xf3, v1
	v_sub_u32_e32 v16, v0, v1
                                        ; implicit-def: $vgpr0
                                        ; implicit-def: $vgpr2_vgpr3
; %bb.11:
	s_or_saveexec_b64 s[2:3], s[2:3]
	s_load_dwordx2 s[10:11], s[10:11], 0x0
	s_xor_b64 exec, exec, s[2:3]
	s_cbranch_execz .LBB0_15
; %bb.12:
	s_add_u32 s12, s12, s16
	s_addc_u32 s13, s13, s17
	s_load_dwordx2 s[12:13], s[12:13], 0x0
	s_mov_b32 s14, 0x10db20b
	s_waitcnt lgkmcnt(0)
	v_mul_lo_u32 v1, s13, v14
	v_mul_lo_u32 v6, s12, v15
	v_mad_u64_u32 v[4:5], s[12:13], s12, v14, 0
	v_add3_u32 v5, v5, v6, v1
	v_mul_hi_u32 v1, v0, s14
	v_mul_u32_u24_e32 v1, 0xf3, v1
	v_sub_u32_e32 v16, v0, v1
	v_lshl_add_u64 v[0:1], v[4:5], 3, s[4:5]
	v_lshl_add_u64 v[2:3], v[2:3], 3, v[0:1]
	v_lshlrev_b32_e32 v0, 3, v16
	v_mov_b32_e32 v1, 0
	v_lshl_add_u64 v[4:5], v[2:3], 0, v[0:1]
	s_movk_i32 s4, 0x1000
	v_add_co_u32_e32 v6, vcc, s4, v4
	s_movk_i32 s4, 0x2000
	s_nop 0
	v_addc_co_u32_e32 v7, vcc, 0, v5, vcc
	v_add_co_u32_e32 v22, vcc, s4, v4
	global_load_dwordx2 v[8:9], v[4:5], off
	global_load_dwordx2 v[10:11], v[4:5], off offset:1944
	global_load_dwordx2 v[18:19], v[4:5], off offset:3888
	;; [unrolled: 1-line block ×3, first 2 shown]
	v_addc_co_u32_e32 v23, vcc, 0, v5, vcc
	v_add_co_u32_e32 v4, vcc, 0x3000, v4
	s_movk_i32 s4, 0xf2
	s_nop 0
	v_addc_co_u32_e32 v5, vcc, 0, v5, vcc
	global_load_dwordx2 v[24:25], v[6:7], off offset:3680
	global_load_dwordx2 v[26:27], v[22:23], off offset:1528
	;; [unrolled: 1-line block ×4, first 2 shown]
	v_add_u32_e32 v0, 0, v0
	v_cmp_eq_u32_e32 vcc, s4, v16
	v_add_u32_e32 v4, 0xf00, v0
	v_add_u32_e32 v5, 0x1e00, v0
	;; [unrolled: 1-line block ×3, first 2 shown]
	s_waitcnt vmcnt(6)
	ds_write2_b64 v0, v[8:9], v[10:11] offset1:243
	s_waitcnt vmcnt(4)
	ds_write2_b64 v4, v[18:19], v[20:21] offset0:6 offset1:249
	s_waitcnt vmcnt(2)
	ds_write2_b64 v5, v[24:25], v[26:27] offset0:12 offset1:255
	;; [unrolled: 2-line block ×3, first 2 shown]
	s_and_saveexec_b64 s[4:5], vcc
	s_cbranch_execz .LBB0_14
; %bb.13:
	v_add_co_u32_e32 v2, vcc, 0x3000, v2
	v_mov_b32_e32 v16, 0xf2
	s_nop 0
	v_addc_co_u32_e32 v3, vcc, 0, v3, vcc
	global_load_dwordx2 v[2:3], v[2:3], off offset:3264
	s_waitcnt vmcnt(0)
	ds_write_b64 v1, v[2:3] offset:15552
.LBB0_14:
	s_or_b64 exec, exec, s[4:5]
.LBB0_15:
	s_or_b64 exec, exec, s[2:3]
	v_lshlrev_b32_e32 v0, 3, v16
	v_add_u32_e32 v32, 0, v0
	s_waitcnt lgkmcnt(0)
	s_barrier
	v_sub_u32_e32 v4, 0, v0
	ds_read_b32 v1, v32
	ds_read_b32 v2, v4 offset:15552
	s_add_u32 s2, s8, 0x3ca8
	s_addc_u32 s3, s9, 0
	v_cmp_ne_u32_e32 vcc, 0, v16
	s_waitcnt lgkmcnt(0)
	v_add_f32_e32 v0, v2, v1
	v_sub_f32_e32 v1, v1, v2
                                        ; implicit-def: $vgpr2_vgpr3
	s_and_saveexec_b64 s[4:5], vcc
	s_xor_b64 s[4:5], exec, s[4:5]
	s_cbranch_execz .LBB0_17
; %bb.16:
	v_mov_b32_e32 v17, 0
	v_lshl_add_u64 v[2:3], v[16:17], 3, s[2:3]
	global_load_dwordx2 v[6:7], v[2:3], off
	ds_read_b32 v5, v4 offset:15556
	ds_read_b32 v11, v32 offset:4
	v_mov_b32_e32 v8, v1
	v_mov_b32_e32 v10, v0
	;; [unrolled: 1-line block ×3, first 2 shown]
	v_mov_b64_e32 v[2:3], v[16:17]
	s_waitcnt lgkmcnt(0)
	v_add_f32_e32 v9, v5, v11
	v_sub_f32_e32 v11, v11, v5
	v_mov_b32_e32 v18, v9
	s_waitcnt vmcnt(0)
	v_pk_mul_f32 v[20:21], v[8:9], v[6:7] op_sel:[0,1]
	v_pk_fma_f32 v[8:9], v[8:9], v[6:7], v[10:11] op_sel:[0,1,0]
	v_mov_b32_e32 v1, v21
	v_mov_b32_e32 v21, v11
	v_pk_fma_f32 v[22:23], v[6:7], v[18:19], v[8:9] neg_lo:[1,0,0] neg_hi:[1,0,0]
	v_pk_fma_f32 v[8:9], v[6:7], v[18:19], v[8:9] op_sel_hi:[0,1,1]
	v_pk_add_f32 v[0:1], v[0:1], v[20:21] neg_lo:[0,1] neg_hi:[0,1]
	v_mov_b32_e32 v23, v9
	v_pk_fma_f32 v[0:1], v[6:7], v[18:19], v[0:1] op_sel_hi:[0,1,1]
	ds_write_b64 v4, v[0:1] offset:15552
	v_mov_b64_e32 v[0:1], v[22:23]
.LBB0_17:
	s_andn2_saveexec_b64 s[4:5], s[4:5]
	s_cbranch_execz .LBB0_19
; %bb.18:
	v_mov_b32_e32 v5, 0
	ds_read_b64 v[2:3], v5 offset:7776
	s_mov_b32 s12, 2.0
	s_mov_b32 s13, -2.0
	s_waitcnt lgkmcnt(0)
	v_pk_mul_f32 v[2:3], v[2:3], s[12:13]
	ds_write_b64 v5, v[2:3] offset:7776
	v_mov_b64_e32 v[2:3], 0
.LBB0_19:
	s_or_b64 exec, exec, s[4:5]
	v_lshl_add_u64 v[2:3], v[2:3], 3, s[2:3]
	global_load_dwordx2 v[6:7], v[2:3], off offset:1944
	global_load_dwordx2 v[8:9], v[2:3], off offset:3888
	s_movk_i32 s2, 0x1000
	v_add_co_u32_e32 v2, vcc, s2, v2
	ds_write_b64 v32, v[0:1]
	s_nop 0
	v_addc_co_u32_e32 v3, vcc, 0, v3, vcc
	global_load_dwordx2 v[2:3], v[2:3], off offset:1736
	ds_read_b64 v[0:1], v4 offset:13608
	ds_read_b64 v[10:11], v32 offset:1944
	v_add_u32_e32 v5, 0xe00, v32
	v_add_u32_e32 v17, 0x1b80, v32
	s_mov_b32 s2, 0x3f5db3d7
	s_waitcnt lgkmcnt(0)
	v_pk_add_f32 v[18:19], v[10:11], v[0:1]
	v_pk_add_f32 v[0:1], v[10:11], v[0:1] neg_lo:[0,1] neg_hi:[0,1]
	v_mov_b32_e32 v10, v19
	v_mov_b32_e32 v11, v0
	;; [unrolled: 1-line block ×3, first 2 shown]
	s_waitcnt vmcnt(2)
	v_pk_mul_f32 v[20:21], v[10:11], v[6:7] op_sel:[0,1]
	s_nop 0
	v_pk_add_f32 v[22:23], v[18:19], v[20:21] op_sel:[0,1] op_sel_hi:[1,0]
	v_mov_b32_e32 v19, v20
	v_mov_b32_e32 v0, v21
	v_pk_fma_f32 v[20:21], v[6:7], v[10:11], v[22:23] neg_lo:[1,0,0] neg_hi:[1,0,0]
	v_pk_fma_f32 v[22:23], v[6:7], v[10:11], v[22:23] op_sel_hi:[0,1,1]
	v_pk_add_f32 v[0:1], v[18:19], v[0:1] neg_lo:[0,1] neg_hi:[0,1]
	v_mov_b32_e32 v21, v23
	v_pk_fma_f32 v[0:1], v[6:7], v[10:11], v[0:1] op_sel_hi:[0,1,1]
	ds_write_b64 v32, v[20:21] offset:1944
	ds_write_b64 v4, v[0:1] offset:13608
	ds_read_b64 v[0:1], v4 offset:11664
	ds_read_b64 v[6:7], v32 offset:3888
	s_waitcnt lgkmcnt(0)
	v_pk_add_f32 v[10:11], v[6:7], v[0:1]
	v_pk_add_f32 v[0:1], v[6:7], v[0:1] neg_lo:[0,1] neg_hi:[0,1]
	v_mov_b32_e32 v6, v11
	v_mov_b32_e32 v7, v0
	;; [unrolled: 1-line block ×3, first 2 shown]
	s_waitcnt vmcnt(1)
	v_pk_mul_f32 v[18:19], v[6:7], v[8:9] op_sel:[0,1]
	s_nop 0
	v_pk_add_f32 v[20:21], v[10:11], v[18:19] op_sel:[0,1] op_sel_hi:[1,0]
	v_mov_b32_e32 v11, v18
	v_mov_b32_e32 v0, v19
	v_pk_fma_f32 v[18:19], v[8:9], v[6:7], v[20:21] neg_lo:[1,0,0] neg_hi:[1,0,0]
	v_pk_fma_f32 v[20:21], v[8:9], v[6:7], v[20:21] op_sel_hi:[0,1,1]
	v_pk_add_f32 v[0:1], v[10:11], v[0:1] neg_lo:[0,1] neg_hi:[0,1]
	v_mov_b32_e32 v19, v21
	v_pk_fma_f32 v[0:1], v[8:9], v[6:7], v[0:1] op_sel_hi:[0,1,1]
	ds_write_b64 v32, v[18:19] offset:3888
	ds_write_b64 v4, v[0:1] offset:11664
	ds_read_b64 v[6:7], v4 offset:9720
	ds_read_b64 v[8:9], v32 offset:5832
	v_add_u32_e32 v0, 0x2880, v32
	v_lshlrev_b32_e32 v1, 4, v16
	v_add_u32_e32 v1, v32, v1
	v_add_u32_e32 v33, 0x16c8, v1
	s_waitcnt lgkmcnt(0)
	v_pk_add_f32 v[10:11], v[8:9], v[6:7]
	v_pk_add_f32 v[6:7], v[8:9], v[6:7] neg_lo:[0,1] neg_hi:[0,1]
	v_mov_b32_e32 v8, v11
	v_mov_b32_e32 v9, v6
	;; [unrolled: 1-line block ×3, first 2 shown]
	s_waitcnt vmcnt(0)
	v_pk_mul_f32 v[18:19], v[8:9], v[2:3] op_sel:[0,1]
	s_nop 0
	v_pk_add_f32 v[20:21], v[10:11], v[18:19] op_sel:[0,1] op_sel_hi:[1,0]
	v_mov_b32_e32 v11, v18
	v_mov_b32_e32 v6, v19
	v_pk_fma_f32 v[18:19], v[2:3], v[8:9], v[20:21] neg_lo:[1,0,0] neg_hi:[1,0,0]
	v_pk_fma_f32 v[20:21], v[2:3], v[8:9], v[20:21] op_sel_hi:[0,1,1]
	v_pk_add_f32 v[6:7], v[10:11], v[6:7] neg_lo:[0,1] neg_hi:[0,1]
	v_mov_b32_e32 v19, v21
	v_pk_fma_f32 v[2:3], v[2:3], v[8:9], v[6:7] op_sel_hi:[0,1,1]
	ds_write_b64 v32, v[18:19] offset:5832
	ds_write_b64 v4, v[2:3] offset:9720
	s_waitcnt lgkmcnt(0)
	s_barrier
	s_barrier
	ds_read_b64 v[10:11], v32 offset:14256
	ds_read2_b64 v[2:5], v5 offset0:38 offset1:200
	ds_read2_b64 v[6:9], v17 offset0:11 offset1:254
	ds_read2_b64 v[18:21], v32 offset1:243
	ds_read2_b64 v[22:25], v0 offset1:243
	s_waitcnt lgkmcnt(0)
	s_barrier
	v_pk_add_f32 v[26:27], v[2:3], v[8:9]
	v_pk_add_f32 v[28:29], v[8:9], v[10:11]
	v_pk_add_f32 v[8:9], v[8:9], v[10:11] neg_lo:[0,1] neg_hi:[0,1]
	v_pk_add_f32 v[30:31], v[18:19], v[4:5]
	v_pk_add_f32 v[34:35], v[4:5], v[22:23]
	v_pk_add_f32 v[4:5], v[4:5], v[22:23] neg_lo:[0,1] neg_hi:[0,1]
	;; [unrolled: 3-line block ×3, first 2 shown]
	v_pk_fma_f32 v[2:3], v[28:29], 0.5, v[2:3] op_sel_hi:[1,0,1] neg_lo:[1,0,0] neg_hi:[1,0,0]
	v_pk_mul_f32 v[28:29], v[8:9], s[2:3] op_sel_hi:[1,0]
	v_pk_add_f32 v[8:9], v[26:27], v[10:11]
	v_pk_fma_f32 v[26:27], v[34:35], 0.5, v[18:19] op_sel_hi:[1,0,1] neg_lo:[1,0,0] neg_hi:[1,0,0]
	v_pk_mul_f32 v[4:5], v[4:5], s[2:3] op_sel_hi:[1,0]
	v_pk_fma_f32 v[20:21], v[38:39], 0.5, v[20:21] op_sel_hi:[1,0,1] neg_lo:[1,0,0] neg_hi:[1,0,0]
	v_pk_mul_f32 v[6:7], v[6:7], s[2:3] op_sel_hi:[1,0]
	v_pk_add_f32 v[10:11], v[2:3], v[28:29] op_sel:[0,1] op_sel_hi:[1,0] neg_lo:[0,1] neg_hi:[0,1]
	v_pk_add_f32 v[18:19], v[2:3], v[28:29] op_sel:[0,1] op_sel_hi:[1,0]
	v_pk_add_f32 v[2:3], v[26:27], v[4:5] op_sel:[0,1] op_sel_hi:[1,0] neg_lo:[0,1] neg_hi:[0,1]
	v_pk_add_f32 v[4:5], v[26:27], v[4:5] op_sel:[0,1] op_sel_hi:[1,0]
	s_movk_i32 s2, 0xa2
	v_pk_add_f32 v[22:23], v[30:31], v[22:23]
	v_pk_add_f32 v[26:27], v[20:21], v[6:7] op_sel:[0,1] op_sel_hi:[1,0] neg_lo:[0,1] neg_hi:[0,1]
	v_pk_add_f32 v[6:7], v[20:21], v[6:7] op_sel:[0,1] op_sel_hi:[1,0]
	v_mov_b32_e32 v20, v2
	v_mov_b32_e32 v21, v5
	v_cmp_gt_u32_e64 s[2:3], s2, v16
	v_pk_add_f32 v[24:25], v[36:37], v[24:25]
	v_mov_b32_e32 v5, v3
	v_mov_b32_e32 v2, v26
	;; [unrolled: 1-line block ×4, first 2 shown]
	ds_write2_b64 v1, v[22:23], v[20:21] offset1:1
	ds_write_b64 v1, v[4:5] offset:16
	ds_write2_b64 v33, v[24:25], v[2:3] offset1:1
	ds_write_b64 v1, v[6:7] offset:5848
	s_and_saveexec_b64 s[4:5], s[2:3]
	s_cbranch_execz .LBB0_21
; %bb.20:
	v_add_u32_e32 v4, 0x2d90, v1
	v_mov_b32_e32 v2, v10
	v_mov_b32_e32 v3, v19
	ds_write2_b64 v4, v[8:9], v[2:3] offset1:1
	v_mov_b32_e32 v2, v18
	v_mov_b32_e32 v3, v11
	ds_write_b64 v1, v[2:3] offset:11680
.LBB0_21:
	s_or_b64 exec, exec, s[4:5]
	s_waitcnt lgkmcnt(0)
	s_barrier
	ds_read_b64 v[20:21], v32
	ds_read_b64 v[22:23], v32 offset:1944
	v_add_u32_e32 v1, 0x1400, v32
	s_waitcnt lgkmcnt(1)
	ds_read_b32 v21, v32 offset:4
	ds_read2_b64 v[4:7], v1 offset0:8 offset1:251
	ds_read2_b64 v[0:3], v0 offset1:243
	s_and_saveexec_b64 s[4:5], s[2:3]
	s_cbranch_execz .LBB0_23
; %bb.22:
	ds_read_b64 v[10:11], v32 offset:14256
	ds_read_b64 v[24:25], v32 offset:9072
	;; [unrolled: 1-line block ×3, first 2 shown]
	s_waitcnt lgkmcnt(2)
	v_mov_b32_e32 v18, v10
	s_waitcnt lgkmcnt(1)
	v_mov_b32_e32 v19, v25
	v_mov_b32_e32 v10, v24
.LBB0_23:
	s_or_b64 exec, exec, s[4:5]
	s_movk_i32 s4, 0xab
	v_mul_lo_u16_sdwa v24, v16, s4 dst_sel:DWORD dst_unused:UNUSED_PAD src0_sel:BYTE_0 src1_sel:DWORD
	v_lshrrev_b16_e32 v31, 9, v24
	v_add_u32_e32 v33, 0xf3, v16
	v_mul_lo_u16_e32 v24, 3, v31
	s_mov_b32 s4, 0xaaab
	v_sub_u16_e32 v43, v16, v24
	v_mul_u32_u24_sdwa v24, v33, s4 dst_sel:DWORD dst_unused:UNUSED_PAD src0_sel:WORD_0 src1_sel:DWORD
	v_lshrrev_b32_e32 v44, 17, v24
	v_add_u32_e32 v17, 0x1e6, v16
	v_mul_lo_u16_e32 v24, 3, v44
	v_sub_u16_e32 v45, v33, v24
	v_mul_u32_u24_sdwa v24, v17, s4 dst_sel:DWORD dst_unused:UNUSED_PAD src0_sel:WORD_0 src1_sel:DWORD
	v_lshrrev_b32_e32 v24, 17, v24
	v_mul_lo_u16_e32 v25, 3, v24
	v_mov_b32_e32 v30, 4
	v_sub_u16_e32 v25, v17, v25
	v_lshlrev_b32_e32 v26, 4, v25
	v_lshlrev_b32_e32 v34, 4, v45
	v_lshlrev_b32_sdwa v30, v30, v43 dst_sel:DWORD dst_unused:UNUSED_PAD src0_sel:DWORD src1_sel:BYTE_0
	global_load_dwordx4 v[26:29], v26, s[8:9]
	v_mov_b32_e32 v42, v11
	global_load_dwordx4 v[38:41], v30, s[8:9]
	v_mov_b32_e32 v30, v19
	;; [unrolled: 2-line block ×3, first 2 shown]
	v_mul_u32_u24_e32 v31, 0x48, v31
	v_mul_u32_u24_e32 v44, 0x48, v44
	v_lshlrev_b32_sdwa v19, v19, v43 dst_sel:DWORD dst_unused:UNUSED_PAD src0_sel:DWORD src1_sel:BYTE_0
	v_lshlrev_b32_e32 v43, 3, v45
	v_add3_u32 v54, 0, v31, v19
	v_add3_u32 v55, 0, v44, v43
	s_mov_b32 s4, 0x3f5db3d7
	s_waitcnt lgkmcnt(0)
	s_barrier
	s_waitcnt vmcnt(2)
	v_pk_mul_f32 v[30:31], v[30:31], v[26:27] op_sel_hi:[0,1]
	v_pk_mul_f32 v[42:43], v[42:43], v[28:29] op_sel_hi:[0,1]
	s_waitcnt vmcnt(1)
	v_pk_mul_f32 v[48:49], v[38:39], v[4:5] op_sel:[0,1]
	v_pk_mul_f32 v[50:51], v[40:41], v[0:1] op_sel:[0,1]
	s_waitcnt vmcnt(0)
	v_pk_mul_f32 v[44:45], v[34:35], v[6:7] op_sel:[0,1]
	v_pk_mul_f32 v[46:47], v[36:37], v[2:3] op_sel:[0,1]
	v_pk_fma_f32 v[52:53], v[10:11], v[26:27], v[30:31] op_sel:[0,0,1] op_sel_hi:[1,1,0]
	v_pk_fma_f32 v[10:11], v[10:11], v[26:27], v[30:31] op_sel:[0,0,1] op_sel_hi:[0,1,0] neg_lo:[1,0,0] neg_hi:[1,0,0]
	v_pk_fma_f32 v[26:27], v[18:19], v[28:29], v[42:43] op_sel:[0,0,1] op_sel_hi:[1,1,0]
	v_pk_fma_f32 v[18:19], v[18:19], v[28:29], v[42:43] op_sel:[0,0,1] op_sel_hi:[0,1,0] neg_lo:[1,0,0] neg_hi:[1,0,0]
	;; [unrolled: 2-line block ×6, first 2 shown]
	v_mov_b32_e32 v53, v11
	v_mov_b32_e32 v27, v19
	;; [unrolled: 1-line block ×6, first 2 shown]
	v_pk_add_f32 v[0:1], v[8:9], v[52:53]
	v_pk_add_f32 v[2:3], v[52:53], v[26:27]
	v_pk_add_f32 v[4:5], v[52:53], v[26:27] neg_lo:[0,1] neg_hi:[0,1]
	v_pk_add_f32 v[6:7], v[22:23], v[28:29]
	v_pk_add_f32 v[10:11], v[34:35], v[20:21]
	;; [unrolled: 1-line block ×3, first 2 shown]
	v_pk_add_f32 v[34:35], v[34:35], v[36:37] neg_lo:[0,1] neg_hi:[0,1]
	v_pk_add_f32 v[40:41], v[28:29], v[30:31]
	v_pk_add_f32 v[28:29], v[28:29], v[30:31] neg_lo:[0,1] neg_hi:[0,1]
	v_pk_add_f32 v[18:19], v[0:1], v[26:27]
	v_pk_fma_f32 v[0:1], v[2:3], 0.5, v[8:9] op_sel_hi:[1,0,1] neg_lo:[1,0,0] neg_hi:[1,0,0]
	v_pk_mul_f32 v[2:3], v[4:5], s[4:5] op_sel_hi:[1,0]
	v_pk_add_f32 v[4:5], v[6:7], v[30:31]
	v_pk_add_f32 v[6:7], v[10:11], v[36:37]
	v_pk_fma_f32 v[8:9], v[38:39], 0.5, v[20:21] op_sel_hi:[1,0,1] neg_lo:[1,0,0] neg_hi:[1,0,0]
	v_pk_mul_f32 v[10:11], v[34:35], s[4:5] op_sel_hi:[1,0]
	v_pk_fma_f32 v[26:27], v[40:41], 0.5, v[22:23] op_sel_hi:[1,0,1] neg_lo:[1,0,0] neg_hi:[1,0,0]
	v_pk_mul_f32 v[28:29], v[28:29], s[4:5] op_sel_hi:[1,0]
	v_pk_add_f32 v[20:21], v[0:1], v[2:3] op_sel:[0,1] op_sel_hi:[1,0] neg_lo:[0,1] neg_hi:[0,1]
	v_pk_add_f32 v[22:23], v[0:1], v[2:3] op_sel:[0,1] op_sel_hi:[1,0]
	v_pk_add_f32 v[0:1], v[8:9], v[10:11] op_sel:[0,1] op_sel_hi:[1,0] neg_lo:[0,1] neg_hi:[0,1]
	v_pk_add_f32 v[2:3], v[8:9], v[10:11] op_sel:[0,1] op_sel_hi:[1,0]
	;; [unrolled: 2-line block ×3, first 2 shown]
	v_mov_b32_e32 v26, v0
	v_mov_b32_e32 v27, v3
	;; [unrolled: 1-line block ×6, first 2 shown]
	ds_write2_b64 v54, v[6:7], v[26:27] offset1:3
	ds_write_b64 v54, v[2:3] offset:48
	ds_write2_b64 v55, v[4:5], v[0:1] offset1:3
	ds_write_b64 v55, v[10:11] offset:48
	s_and_saveexec_b64 s[4:5], s[2:3]
	s_cbranch_execz .LBB0_25
; %bb.24:
	v_mul_lo_u16_e32 v0, 9, v24
	v_lshlrev_b32_e32 v1, 3, v25
	v_lshlrev_b32_e32 v0, 3, v0
	v_add3_u32 v2, 0, v1, v0
	v_mov_b32_e32 v0, v20
	v_mov_b32_e32 v1, v23
	ds_write2_b64 v2, v[18:19], v[0:1] offset1:3
	v_mov_b32_e32 v0, v22
	v_mov_b32_e32 v1, v21
	ds_write_b64 v2, v[0:1] offset:48
.LBB0_25:
	s_or_b64 exec, exec, s[4:5]
	v_add_u32_e32 v4, 0x1400, v32
	v_add_u32_e32 v8, 0x2880, v32
	s_waitcnt lgkmcnt(0)
	s_barrier
	ds_read2_b64 v[0:3], v32 offset1:243
	ds_read2_b64 v[4:7], v4 offset0:8 offset1:251
	ds_read2_b64 v[8:11], v8 offset1:243
	s_and_saveexec_b64 s[4:5], s[2:3]
	s_cbranch_execz .LBB0_27
; %bb.26:
	ds_read_b64 v[20:21], v32 offset:14256
	ds_read_b64 v[24:25], v32 offset:9072
	;; [unrolled: 1-line block ×3, first 2 shown]
	s_waitcnt lgkmcnt(2)
	v_mov_b32_e32 v22, v20
	s_waitcnt lgkmcnt(1)
	v_mov_b32_e32 v23, v25
	v_mov_b32_e32 v20, v24
.LBB0_27:
	s_or_b64 exec, exec, s[4:5]
	v_mov_b32_e32 v24, 57
	v_mul_lo_u16_sdwa v24, v16, v24 dst_sel:DWORD dst_unused:UNUSED_PAD src0_sel:BYTE_0 src1_sel:DWORD
	v_lshrrev_b16_e32 v31, 9, v24
	v_mul_lo_u16_e32 v24, 9, v31
	s_mov_b32 s4, 0xe38f
	v_sub_u16_e32 v43, v16, v24
	v_mul_u32_u24_sdwa v24, v33, s4 dst_sel:DWORD dst_unused:UNUSED_PAD src0_sel:WORD_0 src1_sel:DWORD
	v_lshrrev_b32_e32 v44, 19, v24
	v_mul_lo_u16_e32 v24, 9, v44
	v_sub_u16_e32 v45, v33, v24
	v_mul_u32_u24_sdwa v24, v17, s4 dst_sel:DWORD dst_unused:UNUSED_PAD src0_sel:WORD_0 src1_sel:DWORD
	v_lshrrev_b32_e32 v24, 19, v24
	v_mul_lo_u16_e32 v25, 9, v24
	v_mov_b32_e32 v30, 4
	v_sub_u16_e32 v25, v17, v25
	v_lshlrev_b32_e32 v26, 4, v25
	v_lshlrev_b32_e32 v34, 4, v45
	v_lshlrev_b32_sdwa v30, v30, v43 dst_sel:DWORD dst_unused:UNUSED_PAD src0_sel:DWORD src1_sel:BYTE_0
	global_load_dwordx4 v[26:29], v26, s[8:9] offset:48
	v_mov_b32_e32 v42, v21
	global_load_dwordx4 v[38:41], v30, s[8:9] offset:48
	v_mov_b32_e32 v30, v23
	;; [unrolled: 2-line block ×3, first 2 shown]
	v_mul_u32_u24_e32 v31, 0xd8, v31
	v_mul_u32_u24_e32 v44, 0xd8, v44
	v_lshlrev_b32_sdwa v23, v23, v43 dst_sel:DWORD dst_unused:UNUSED_PAD src0_sel:DWORD src1_sel:BYTE_0
	v_lshlrev_b32_e32 v43, 3, v45
	v_add3_u32 v54, 0, v31, v23
	v_add3_u32 v55, 0, v44, v43
	s_mov_b32 s4, 0x3f5db3d7
	s_waitcnt lgkmcnt(0)
	s_barrier
	s_waitcnt vmcnt(2)
	v_pk_mul_f32 v[30:31], v[30:31], v[26:27] op_sel_hi:[0,1]
	v_pk_mul_f32 v[42:43], v[42:43], v[28:29] op_sel_hi:[0,1]
	s_waitcnt vmcnt(1)
	v_pk_mul_f32 v[48:49], v[38:39], v[4:5] op_sel:[0,1]
	v_pk_mul_f32 v[50:51], v[40:41], v[8:9] op_sel:[0,1]
	s_waitcnt vmcnt(0)
	v_pk_mul_f32 v[44:45], v[34:35], v[6:7] op_sel:[0,1]
	v_pk_mul_f32 v[46:47], v[36:37], v[10:11] op_sel:[0,1]
	v_pk_fma_f32 v[52:53], v[20:21], v[26:27], v[30:31] op_sel:[0,0,1] op_sel_hi:[1,1,0]
	v_pk_fma_f32 v[20:21], v[20:21], v[26:27], v[30:31] op_sel:[0,0,1] op_sel_hi:[0,1,0] neg_lo:[1,0,0] neg_hi:[1,0,0]
	v_pk_fma_f32 v[26:27], v[22:23], v[28:29], v[42:43] op_sel:[0,0,1] op_sel_hi:[1,1,0]
	v_pk_fma_f32 v[22:23], v[22:23], v[28:29], v[42:43] op_sel:[0,0,1] op_sel_hi:[0,1,0] neg_lo:[1,0,0] neg_hi:[1,0,0]
	;; [unrolled: 2-line block ×6, first 2 shown]
	v_mov_b32_e32 v53, v21
	v_mov_b32_e32 v27, v23
	;; [unrolled: 1-line block ×6, first 2 shown]
	v_pk_add_f32 v[4:5], v[18:19], v[52:53]
	v_pk_add_f32 v[6:7], v[52:53], v[26:27]
	v_pk_add_f32 v[8:9], v[52:53], v[26:27] neg_lo:[0,1] neg_hi:[0,1]
	v_pk_add_f32 v[20:21], v[34:35], v[0:1]
	v_pk_add_f32 v[38:39], v[34:35], v[36:37]
	v_pk_add_f32 v[34:35], v[34:35], v[36:37] neg_lo:[0,1] neg_hi:[0,1]
	;; [unrolled: 3-line block ×3, first 2 shown]
	v_pk_add_f32 v[22:23], v[4:5], v[26:27]
	v_pk_fma_f32 v[4:5], v[6:7], 0.5, v[18:19] op_sel_hi:[1,0,1] neg_lo:[1,0,0] neg_hi:[1,0,0]
	v_pk_mul_f32 v[6:7], v[8:9], s[4:5] op_sel_hi:[1,0]
	v_pk_fma_f32 v[0:1], v[38:39], 0.5, v[0:1] op_sel_hi:[1,0,1] neg_lo:[1,0,0] neg_hi:[1,0,0]
	v_pk_mul_f32 v[26:27], v[34:35], s[4:5] op_sel_hi:[1,0]
	v_pk_add_f32 v[8:9], v[10:11], v[30:31]
	v_pk_add_f32 v[10:11], v[20:21], v[36:37]
	v_pk_fma_f32 v[2:3], v[40:41], 0.5, v[2:3] op_sel_hi:[1,0,1] neg_lo:[1,0,0] neg_hi:[1,0,0]
	v_pk_mul_f32 v[28:29], v[28:29], s[4:5] op_sel_hi:[1,0]
	v_pk_add_f32 v[18:19], v[4:5], v[6:7] op_sel:[0,1] op_sel_hi:[1,0] neg_lo:[0,1] neg_hi:[0,1]
	v_pk_add_f32 v[20:21], v[4:5], v[6:7] op_sel:[0,1] op_sel_hi:[1,0]
	v_pk_add_f32 v[4:5], v[0:1], v[26:27] op_sel:[0,1] op_sel_hi:[1,0] neg_lo:[0,1] neg_hi:[0,1]
	v_pk_add_f32 v[0:1], v[0:1], v[26:27] op_sel:[0,1] op_sel_hi:[1,0]
	;; [unrolled: 2-line block ×3, first 2 shown]
	v_mov_b32_e32 v26, v4
	v_mov_b32_e32 v27, v1
	;; [unrolled: 1-line block ×6, first 2 shown]
	ds_write2_b64 v54, v[10:11], v[26:27] offset1:9
	ds_write_b64 v54, v[0:1] offset:144
	ds_write2_b64 v55, v[8:9], v[4:5] offset1:9
	ds_write_b64 v55, v[2:3] offset:144
	s_and_saveexec_b64 s[4:5], s[2:3]
	s_cbranch_execz .LBB0_29
; %bb.28:
	v_mul_lo_u16_e32 v0, 27, v24
	v_lshlrev_b32_e32 v1, 3, v25
	v_lshlrev_b32_e32 v0, 3, v0
	v_add3_u32 v2, 0, v1, v0
	v_mov_b32_e32 v0, v18
	v_mov_b32_e32 v1, v21
	ds_write2_b64 v2, v[22:23], v[0:1] offset1:9
	v_mov_b32_e32 v0, v20
	v_mov_b32_e32 v1, v19
	ds_write_b64 v2, v[0:1] offset:144
.LBB0_29:
	s_or_b64 exec, exec, s[4:5]
	v_add_u32_e32 v4, 0x1400, v32
	v_add_u32_e32 v8, 0x2880, v32
	s_waitcnt lgkmcnt(0)
	s_barrier
	ds_read2_b64 v[0:3], v32 offset1:243
	ds_read2_b64 v[4:7], v4 offset0:8 offset1:251
	ds_read2_b64 v[8:11], v8 offset1:243
	s_and_saveexec_b64 s[4:5], s[2:3]
	s_cbranch_execz .LBB0_31
; %bb.30:
	ds_read_b64 v[18:19], v32 offset:14256
	ds_read_b64 v[24:25], v32 offset:9072
	;; [unrolled: 1-line block ×3, first 2 shown]
	s_waitcnt lgkmcnt(2)
	v_mov_b32_e32 v20, v18
	s_waitcnt lgkmcnt(1)
	v_mov_b32_e32 v21, v25
	v_mov_b32_e32 v18, v24
.LBB0_31:
	s_or_b64 exec, exec, s[4:5]
	s_movk_i32 s4, 0x2f69
	v_mul_u32_u24_sdwa v26, v33, s4 dst_sel:DWORD dst_unused:UNUSED_PAD src0_sel:WORD_0 src1_sel:DWORD
	v_sub_u16_sdwa v28, v33, v26 dst_sel:DWORD dst_unused:UNUSED_PAD src0_sel:DWORD src1_sel:WORD_1
	v_lshrrev_b16_e32 v28, 1, v28
	v_add_u16_sdwa v26, v28, v26 dst_sel:DWORD dst_unused:UNUSED_PAD src0_sel:DWORD src1_sel:WORD_1
	v_lshrrev_b16_e32 v31, 4, v26
	v_mul_lo_u16_e32 v26, 27, v31
	v_sub_u16_e32 v46, v33, v26
	v_mul_u32_u24_sdwa v26, v17, s4 dst_sel:DWORD dst_unused:UNUSED_PAD src0_sel:WORD_0 src1_sel:DWORD
	v_sub_u16_sdwa v28, v17, v26 dst_sel:DWORD dst_unused:UNUSED_PAD src0_sel:DWORD src1_sel:WORD_1
	v_mov_b32_e32 v24, 19
	v_lshrrev_b16_e32 v28, 1, v28
	v_mul_lo_u16_sdwa v24, v16, v24 dst_sel:DWORD dst_unused:UNUSED_PAD src0_sel:BYTE_0 src1_sel:DWORD
	v_add_u16_sdwa v26, v28, v26 dst_sel:DWORD dst_unused:UNUSED_PAD src0_sel:DWORD src1_sel:WORD_1
	v_lshrrev_b16_e32 v25, 9, v24
	v_lshrrev_b16_e32 v29, 4, v26
	v_mul_lo_u16_e32 v24, 27, v25
	v_mul_lo_u16_e32 v26, 27, v29
	v_sub_u16_e32 v27, v16, v24
	v_mov_b32_e32 v24, 4
	v_sub_u16_e32 v30, v17, v26
	v_lshlrev_b32_e32 v26, 4, v30
	v_lshlrev_b32_sdwa v24, v24, v27 dst_sel:DWORD dst_unused:UNUSED_PAD src0_sel:DWORD src1_sel:BYTE_0
	global_load_dwordx4 v[34:37], v26, s[8:9] offset:192
	global_load_dwordx4 v[42:45], v24, s[8:9] offset:192
	v_lshlrev_b32_e32 v26, 4, v46
	global_load_dwordx4 v[38:41], v26, s[8:9] offset:192
	v_mov_b32_e32 v28, 3
	v_mov_b32_e32 v24, v21
	v_mul_u32_u24_e32 v21, 0x288, v25
	v_lshlrev_b32_sdwa v25, v28, v27 dst_sel:DWORD dst_unused:UNUSED_PAD src0_sel:DWORD src1_sel:BYTE_0
	v_mov_b32_e32 v26, v19
	v_add3_u32 v58, 0, v21, v25
	v_lshlrev_b32_e32 v25, 3, v46
	v_mul_u32_u24_e32 v21, 0x288, v31
	v_add3_u32 v31, 0, v21, v25
	s_mov_b32 s4, 0x3f5db3d7
	s_waitcnt lgkmcnt(0)
	s_barrier
	s_waitcnt vmcnt(2)
	v_pk_mul_f32 v[46:47], v[24:25], v[34:35] op_sel_hi:[0,1]
	v_pk_mul_f32 v[48:49], v[26:27], v[36:37] op_sel_hi:[0,1]
	s_waitcnt vmcnt(1)
	v_pk_mul_f32 v[54:55], v[42:43], v[4:5] op_sel:[0,1]
	s_waitcnt vmcnt(0)
	v_pk_mul_f32 v[50:51], v[38:39], v[6:7] op_sel:[0,1]
	v_pk_mul_f32 v[52:53], v[40:41], v[10:11] op_sel:[0,1]
	;; [unrolled: 1-line block ×3, first 2 shown]
	v_pk_fma_f32 v[24:25], v[18:19], v[34:35], v[46:47] op_sel:[0,0,1] op_sel_hi:[1,1,0]
	v_pk_fma_f32 v[18:19], v[18:19], v[34:35], v[46:47] op_sel:[0,0,1] op_sel_hi:[0,1,0] neg_lo:[1,0,0] neg_hi:[1,0,0]
	v_pk_fma_f32 v[26:27], v[20:21], v[36:37], v[48:49] op_sel:[0,0,1] op_sel_hi:[1,1,0]
	v_pk_fma_f32 v[20:21], v[20:21], v[36:37], v[48:49] op_sel:[0,0,1] op_sel_hi:[0,1,0] neg_lo:[1,0,0] neg_hi:[1,0,0]
	;; [unrolled: 2-line block ×6, first 2 shown]
	v_mov_b32_e32 v25, v19
	v_mov_b32_e32 v27, v21
	;; [unrolled: 1-line block ×6, first 2 shown]
	v_pk_add_f32 v[4:5], v[24:25], v[26:27]
	v_pk_add_f32 v[6:7], v[24:25], v[26:27] neg_lo:[0,1] neg_hi:[0,1]
	v_pk_add_f32 v[8:9], v[2:3], v[34:35]
	v_pk_add_f32 v[18:19], v[38:39], v[40:41]
	v_pk_add_f32 v[20:21], v[38:39], v[40:41] neg_lo:[0,1] neg_hi:[0,1]
	v_pk_add_f32 v[10:11], v[38:39], v[0:1]
	v_pk_add_f32 v[38:39], v[34:35], v[36:37]
	v_pk_add_f32 v[34:35], v[34:35], v[36:37] neg_lo:[0,1] neg_hi:[0,1]
	v_pk_fma_f32 v[4:5], v[4:5], 0.5, v[22:23] op_sel_hi:[1,0,1] neg_lo:[1,0,0] neg_hi:[1,0,0]
	v_pk_mul_f32 v[6:7], v[6:7], s[4:5] op_sel_hi:[1,0]
	v_pk_add_f32 v[8:9], v[8:9], v[36:37]
	v_pk_fma_f32 v[0:1], v[18:19], 0.5, v[0:1] op_sel_hi:[1,0,1] neg_lo:[1,0,0] neg_hi:[1,0,0]
	v_pk_mul_f32 v[36:37], v[20:21], s[4:5] op_sel_hi:[1,0]
	v_pk_fma_f32 v[2:3], v[38:39], 0.5, v[2:3] op_sel_hi:[1,0,1] neg_lo:[1,0,0] neg_hi:[1,0,0]
	v_pk_mul_f32 v[34:35], v[34:35], s[4:5] op_sel_hi:[1,0]
	v_pk_add_f32 v[18:19], v[4:5], v[6:7] op_sel:[0,1] op_sel_hi:[1,0]
	v_pk_add_f32 v[20:21], v[4:5], v[6:7] op_sel:[0,1] op_sel_hi:[1,0] neg_lo:[0,1] neg_hi:[0,1]
	v_pk_add_f32 v[4:5], v[0:1], v[36:37] op_sel:[0,1] op_sel_hi:[1,0] neg_lo:[0,1] neg_hi:[0,1]
	v_pk_add_f32 v[0:1], v[0:1], v[36:37] op_sel:[0,1] op_sel_hi:[1,0]
	v_pk_add_f32 v[10:11], v[10:11], v[40:41]
	v_pk_add_f32 v[6:7], v[2:3], v[34:35] op_sel:[0,1] op_sel_hi:[1,0] neg_lo:[0,1] neg_hi:[0,1]
	v_pk_add_f32 v[2:3], v[2:3], v[34:35] op_sel:[0,1] op_sel_hi:[1,0]
	v_mov_b32_e32 v34, v4
	v_mov_b32_e32 v35, v1
	v_mov_b32_e32 v1, v5
	v_mov_b32_e32 v4, v6
	v_mov_b32_e32 v5, v3
	v_mov_b32_e32 v3, v7
	ds_write2_b64 v58, v[10:11], v[34:35] offset1:27
	ds_write_b64 v58, v[0:1] offset:432
	ds_write2_b64 v31, v[8:9], v[4:5] offset1:27
	ds_write_b64 v31, v[2:3] offset:432
	s_and_saveexec_b64 s[4:5], s[2:3]
	s_cbranch_execz .LBB0_33
; %bb.32:
	v_mul_lo_u16_e32 v0, 0x51, v29
	v_lshlrev_b32_e32 v1, 3, v30
	v_lshlrev_b32_e32 v0, 3, v0
	v_add3_u32 v4, 0, v1, v0
	v_pk_add_f32 v[0:1], v[22:23], v[24:25]
	v_mov_b32_e32 v2, v20
	v_pk_add_f32 v[0:1], v[0:1], v[26:27]
	v_mov_b32_e32 v3, v19
	v_mov_b32_e32 v19, v21
	ds_write2_b64 v4, v[0:1], v[2:3] offset1:27
	ds_write_b64 v4, v[18:19] offset:432
.LBB0_33:
	s_or_b64 exec, exec, s[4:5]
	s_movk_i32 s4, 0xcb
	v_mul_lo_u16_sdwa v0, v16, s4 dst_sel:DWORD dst_unused:UNUSED_PAD src0_sel:BYTE_0 src1_sel:DWORD
	v_lshrrev_b16_e32 v19, 14, v0
	v_mul_lo_u16_e32 v0, 0x51, v19
	v_sub_u16_e32 v29, v16, v0
	v_mov_b32_e32 v0, 7
	v_mul_u32_u24_sdwa v0, v29, v0 dst_sel:DWORD dst_unused:UNUSED_PAD src0_sel:BYTE_0 src1_sel:DWORD
	v_lshlrev_b32_e32 v20, 3, v0
	s_waitcnt lgkmcnt(0)
	s_barrier
	global_load_dwordx4 v[0:3], v20, s[8:9] offset:624
	global_load_dwordx4 v[4:7], v20, s[8:9] offset:640
	;; [unrolled: 1-line block ×3, first 2 shown]
	global_load_dwordx2 v[26:27], v20, s[8:9] offset:672
	v_add_u32_e32 v20, 0xf00, v32
	v_add_u32_e32 v38, 0x1e00, v32
	;; [unrolled: 1-line block ×3, first 2 shown]
	ds_read2_b64 v[22:25], v32 offset1:243
	ds_read_b64 v[30:31], v32 offset:13608
	ds_read2_b64 v[34:37], v20 offset0:6 offset1:249
	ds_read2_b64 v[38:41], v38 offset0:12 offset1:255
	ds_read2_b32 v[42:43], v42 offset0:100 offset1:101
	v_mul_u32_u24_e32 v19, 0x1440, v19
	v_lshlrev_b32_sdwa v29, v28, v29 dst_sel:DWORD dst_unused:UNUSED_PAD src0_sel:DWORD src1_sel:BYTE_0
	s_waitcnt lgkmcnt(4)
	v_mov_b32_e32 v20, v25
	s_waitcnt lgkmcnt(3)
	v_mov_b32_e32 v44, v31
	;; [unrolled: 2-line block ×5, first 2 shown]
	v_add3_u32 v19, 0, v19, v29
	s_mov_b32 s4, 0x3f3504f3
	s_barrier
	s_waitcnt vmcnt(3)
	v_pk_mul_f32 v[50:51], v[0:1], v[24:25] op_sel_hi:[1,0]
	v_pk_mul_f32 v[52:53], v[2:3], v[34:35] op_sel:[0,1]
	s_waitcnt vmcnt(2)
	v_pk_mul_f32 v[54:55], v[4:5], v[36:37] op_sel_hi:[1,0]
	v_pk_mul_f32 v[56:57], v[6:7], v[38:39] op_sel:[0,1]
	s_waitcnt vmcnt(1)
	v_pk_mul_f32 v[58:59], v[8:9], v[40:41] op_sel_hi:[1,0]
	s_waitcnt vmcnt(0)
	v_pk_mul_f32 v[60:61], v[30:31], v[26:27] op_sel_hi:[0,1]
	v_pk_mul_f32 v[48:49], v[48:49], v[10:11] op_sel_hi:[0,1]
	v_pk_fma_f32 v[62:63], v[0:1], v[20:21], v[50:51] op_sel:[0,0,1] op_sel_hi:[1,1,0] neg_lo:[0,0,1] neg_hi:[0,0,1]
	v_pk_fma_f32 v[0:1], v[0:1], v[24:25], v[50:51] op_sel:[0,1,1] op_sel_hi:[1,1,0]
	v_pk_fma_f32 v[24:25], v[2:3], v[34:35], v[52:53] op_sel:[0,0,1] op_sel_hi:[1,1,0]
	v_pk_fma_f32 v[2:3], v[2:3], v[34:35], v[52:53] op_sel:[0,0,1] op_sel_hi:[1,0,0] neg_lo:[1,0,0] neg_hi:[1,0,0]
	v_pk_fma_f32 v[28:29], v[4:5], v[28:29], v[54:55] op_sel:[0,0,1] op_sel_hi:[1,1,0] neg_lo:[0,0,1] neg_hi:[0,0,1]
	v_pk_fma_f32 v[4:5], v[4:5], v[36:37], v[54:55] op_sel:[0,1,1] op_sel_hi:[1,1,0]
	v_pk_fma_f32 v[34:35], v[6:7], v[38:39], v[56:57] op_sel:[0,0,1] op_sel_hi:[1,1,0]
	v_pk_fma_f32 v[6:7], v[6:7], v[38:39], v[56:57] op_sel:[0,0,1] op_sel_hi:[1,0,0] neg_lo:[1,0,0] neg_hi:[1,0,0]
	v_pk_fma_f32 v[36:37], v[8:9], v[46:47], v[58:59] op_sel:[0,0,1] op_sel_hi:[1,1,0] neg_lo:[0,0,1] neg_hi:[0,0,1]
	v_pk_fma_f32 v[8:9], v[8:9], v[40:41], v[58:59] op_sel:[0,1,1] op_sel_hi:[1,1,0]
	v_pk_fma_f32 v[40:41], v[44:45], v[26:27], v[60:61] op_sel:[0,0,1] op_sel_hi:[1,1,0] neg_lo:[0,0,1] neg_hi:[0,0,1]
	v_pk_fma_f32 v[26:27], v[30:31], v[26:27], v[60:61] op_sel:[1,0,1] op_sel_hi:[1,1,0]
	v_pk_fma_f32 v[38:39], v[10:11], v[42:43], v[48:49] op_sel:[0,0,1] op_sel_hi:[1,1,0]
	v_pk_fma_f32 v[10:11], v[10:11], v[42:43], v[48:49] op_sel:[0,0,1] op_sel_hi:[1,0,0] neg_lo:[1,0,0] neg_hi:[1,0,0]
	v_mov_b32_e32 v63, v1
	v_mov_b32_e32 v29, v5
	v_mov_b32_e32 v35, v7
	v_mov_b32_e32 v37, v9
	v_mov_b32_e32 v41, v27
	v_mov_b32_e32 v25, v3
	v_mov_b32_e32 v39, v11
	v_pk_add_f32 v[0:1], v[22:23], v[34:35] neg_lo:[0,1] neg_hi:[0,1]
	v_pk_add_f32 v[4:5], v[62:63], v[36:37] neg_lo:[0,1] neg_hi:[0,1]
	v_pk_add_f32 v[6:7], v[28:29], v[40:41] neg_lo:[0,1] neg_hi:[0,1]
	v_pk_add_f32 v[2:3], v[24:25], v[38:39] neg_lo:[0,1] neg_hi:[0,1]
	v_pk_fma_f32 v[8:9], v[22:23], 2.0, v[0:1] op_sel_hi:[1,0,1] neg_lo:[0,0,1] neg_hi:[0,0,1]
	v_pk_fma_f32 v[22:23], v[28:29], 2.0, v[6:7] op_sel_hi:[1,0,1] neg_lo:[0,0,1] neg_hi:[0,0,1]
	v_pk_add_f32 v[30:31], v[4:5], v[6:7] op_sel:[0,1] op_sel_hi:[1,0] neg_lo:[0,1] neg_hi:[0,1]
	v_pk_add_f32 v[6:7], v[4:5], v[6:7] op_sel:[0,1] op_sel_hi:[1,0]
	v_pk_fma_f32 v[10:11], v[24:25], 2.0, v[2:3] op_sel_hi:[1,0,1] neg_lo:[0,0,1] neg_hi:[0,0,1]
	v_pk_fma_f32 v[26:27], v[62:63], 2.0, v[4:5] op_sel_hi:[1,0,1] neg_lo:[0,0,1] neg_hi:[0,0,1]
	v_pk_add_f32 v[34:35], v[0:1], v[2:3] op_sel:[0,1] op_sel_hi:[1,0]
	v_pk_add_f32 v[2:3], v[0:1], v[2:3] op_sel:[0,1] op_sel_hi:[1,0] neg_lo:[0,1] neg_hi:[0,1]
	v_mov_b32_e32 v31, v7
	v_pk_add_f32 v[10:11], v[8:9], v[10:11] neg_lo:[0,1] neg_hi:[0,1]
	v_pk_add_f32 v[28:29], v[26:27], v[22:23] neg_lo:[0,1] neg_hi:[0,1]
	v_mov_b32_e32 v35, v3
	v_pk_fma_f32 v[4:5], v[4:5], 2.0, v[30:31] op_sel_hi:[1,0,1] neg_lo:[0,0,1] neg_hi:[0,0,1]
	v_pk_mul_f32 v[2:3], v[30:31], s[4:5] op_sel_hi:[1,0]
	v_pk_fma_f32 v[6:7], v[8:9], 2.0, v[10:11] op_sel_hi:[1,0,1] neg_lo:[0,0,1] neg_hi:[0,0,1]
	v_pk_fma_f32 v[8:9], v[26:27], 2.0, v[28:29] op_sel_hi:[1,0,1] neg_lo:[0,0,1] neg_hi:[0,0,1]
	;; [unrolled: 1-line block ×3, first 2 shown]
	v_pk_mul_f32 v[26:27], v[4:5], s[4:5] op_sel_hi:[1,0]
	v_pk_add_f32 v[2:3], v[34:35], v[2:3] op_sel:[0,1] op_sel_hi:[1,0]
	v_pk_add_f32 v[36:37], v[0:1], v[26:27] op_sel:[0,1] op_sel_hi:[1,0] neg_lo:[0,1] neg_hi:[0,1]
	v_pk_add_f32 v[22:23], v[10:11], v[28:29]
	v_pk_add_f32 v[24:25], v[10:11], v[28:29] neg_lo:[0,1] neg_hi:[0,1]
	v_pk_fma_f32 v[28:29], v[30:31], s[4:5], v[2:3] op_sel_hi:[1,0,1]
	v_pk_fma_f32 v[26:27], v[30:31], s[4:5], v[2:3] op_sel_hi:[1,0,1] neg_lo:[1,0,0] neg_hi:[1,0,0]
	v_pk_fma_f32 v[2:3], v[4:5], s[4:5], v[36:37] op_sel_hi:[1,0,1]
	v_pk_fma_f32 v[4:5], v[4:5], s[4:5], v[36:37] op_sel_hi:[1,0,1] neg_lo:[1,0,0] neg_hi:[1,0,0]
	v_pk_add_f32 v[8:9], v[6:7], v[8:9] op_sel:[0,1] op_sel_hi:[1,0] neg_lo:[0,1] neg_hi:[0,1]
	v_mov_b32_e32 v3, v5
	v_mov_b32_e32 v23, v25
	v_pk_fma_f32 v[6:7], v[6:7], 2.0, v[8:9] op_sel_hi:[1,0,1] neg_lo:[0,0,1] neg_hi:[0,0,1]
	v_pk_fma_f32 v[0:1], v[0:1], 2.0, v[2:3] op_sel_hi:[1,0,1] neg_lo:[0,0,1] neg_hi:[0,0,1]
	v_mov_b32_e32 v29, v27
	v_pk_fma_f32 v[10:11], v[10:11], 2.0, v[22:23] op_sel_hi:[1,0,1] neg_lo:[0,0,1] neg_hi:[0,0,1]
	ds_write2_b64 v19, v[6:7], v[0:1] offset1:81
	v_pk_fma_f32 v[0:1], v[34:35], 2.0, v[28:29] op_sel_hi:[1,0,1] neg_lo:[0,0,1] neg_hi:[0,0,1]
	ds_write2_b64 v19, v[10:11], v[0:1] offset0:162 offset1:243
	v_add_u32_e32 v0, 0x800, v19
	ds_write2_b64 v0, v[8:9], v[2:3] offset0:68 offset1:149
	v_add_u32_e32 v0, 0xc00, v19
	v_add_u32_e32 v19, 0x1400, v32
	;; [unrolled: 1-line block ×3, first 2 shown]
	ds_write2_b64 v0, v[22:23], v[28:29] offset0:102 offset1:183
	s_waitcnt lgkmcnt(0)
	s_barrier
	ds_read2_b64 v[0:3], v32 offset1:243
	ds_read2_b64 v[4:7], v19 offset0:8 offset1:251
	ds_read2_b64 v[8:11], v24 offset1:243
	s_and_saveexec_b64 s[4:5], s[2:3]
	s_cbranch_execz .LBB0_35
; %bb.34:
	ds_read_b64 v[20:21], v32 offset:14256
	ds_read_b64 v[26:27], v32 offset:9072
	;; [unrolled: 1-line block ×3, first 2 shown]
	s_waitcnt lgkmcnt(2)
	v_mov_b32_e32 v18, v20
	s_waitcnt lgkmcnt(1)
	v_mov_b32_e32 v28, v26
	;; [unrolled: 2-line block ×3, first 2 shown]
.LBB0_35:
	s_or_b64 exec, exec, s[4:5]
	v_lshlrev_b32_e32 v30, 1, v16
	v_mov_b32_e32 v31, 0
	v_lshl_add_u64 v[34:35], v[30:31], 3, s[8:9]
	v_lshlrev_b32_e32 v30, 1, v33
	v_add_co_u32_e32 v34, vcc, 0x1000, v34
	v_lshl_add_u64 v[38:39], v[30:31], 3, s[8:9]
	s_movk_i32 s4, 0x1000
	v_addc_co_u32_e32 v35, vcc, 0, v35, vcc
	v_add_co_u32_e32 v38, vcc, s4, v38
	global_load_dwordx4 v[34:37], v[34:35], off offset:1064
	s_nop 0
	v_addc_co_u32_e32 v39, vcc, 0, v39, vcc
	global_load_dwordx4 v[38:41], v[38:39], off offset:1064
	s_mov_b32 s4, 0x3f5db3d7
	s_waitcnt lgkmcnt(0)
	s_barrier
	s_waitcnt vmcnt(1)
	v_pk_mul_f32 v[42:43], v[34:35], v[4:5] op_sel:[0,1]
	v_pk_mul_f32 v[44:45], v[36:37], v[8:9] op_sel:[0,1]
	v_pk_fma_f32 v[50:51], v[34:35], v[4:5], v[42:43] op_sel:[0,0,1] op_sel_hi:[1,1,0]
	s_waitcnt vmcnt(0)
	v_pk_mul_f32 v[46:47], v[38:39], v[6:7] op_sel:[0,1]
	v_pk_mul_f32 v[48:49], v[40:41], v[10:11] op_sel:[0,1]
	v_pk_fma_f32 v[4:5], v[34:35], v[4:5], v[42:43] op_sel:[0,0,1] op_sel_hi:[1,0,0] neg_lo:[1,0,0] neg_hi:[1,0,0]
	v_pk_fma_f32 v[34:35], v[36:37], v[8:9], v[44:45] op_sel:[0,0,1] op_sel_hi:[1,1,0]
	v_pk_fma_f32 v[8:9], v[36:37], v[8:9], v[44:45] op_sel:[0,0,1] op_sel_hi:[1,0,0] neg_lo:[1,0,0] neg_hi:[1,0,0]
	v_pk_fma_f32 v[36:37], v[38:39], v[6:7], v[46:47] op_sel:[0,0,1] op_sel_hi:[1,1,0]
	;; [unrolled: 2-line block ×3, first 2 shown]
	v_pk_fma_f32 v[10:11], v[40:41], v[10:11], v[48:49] op_sel:[0,0,1] op_sel_hi:[1,0,0] neg_lo:[1,0,0] neg_hi:[1,0,0]
	v_mov_b32_e32 v51, v5
	v_mov_b32_e32 v35, v9
	v_mov_b32_e32 v37, v7
	v_mov_b32_e32 v39, v11
	v_pk_add_f32 v[4:5], v[50:51], v[0:1]
	v_pk_add_f32 v[6:7], v[2:3], v[36:37]
	v_pk_add_f32 v[8:9], v[50:51], v[34:35]
	v_pk_add_f32 v[10:11], v[50:51], v[34:35] neg_lo:[0,1] neg_hi:[0,1]
	v_pk_add_f32 v[40:41], v[36:37], v[38:39]
	v_pk_add_f32 v[36:37], v[36:37], v[38:39] neg_lo:[0,1] neg_hi:[0,1]
	v_pk_add_f32 v[4:5], v[4:5], v[34:35]
	v_pk_add_f32 v[6:7], v[6:7], v[38:39]
	v_pk_fma_f32 v[0:1], v[8:9], 0.5, v[0:1] op_sel_hi:[1,0,1] neg_lo:[1,0,0] neg_hi:[1,0,0]
	v_pk_mul_f32 v[8:9], v[10:11], s[4:5] op_sel_hi:[1,0]
	v_pk_fma_f32 v[2:3], v[40:41], 0.5, v[2:3] op_sel_hi:[1,0,1] neg_lo:[1,0,0] neg_hi:[1,0,0]
	v_pk_mul_f32 v[10:11], v[36:37], s[4:5] op_sel_hi:[1,0]
	v_pk_add_f32 v[34:35], v[0:1], v[8:9] op_sel:[0,1] op_sel_hi:[1,0] neg_lo:[0,1] neg_hi:[0,1]
	v_pk_add_f32 v[0:1], v[0:1], v[8:9] op_sel:[0,1] op_sel_hi:[1,0]
	ds_write2_b64 v32, v[4:5], v[6:7] offset1:243
	v_pk_add_f32 v[4:5], v[2:3], v[10:11] op_sel:[0,1] op_sel_hi:[1,0] neg_lo:[0,1] neg_hi:[0,1]
	v_pk_add_f32 v[2:3], v[2:3], v[10:11] op_sel:[0,1] op_sel_hi:[1,0]
	v_mov_b32_e32 v6, v34
	v_mov_b32_e32 v7, v1
	;; [unrolled: 1-line block ×6, first 2 shown]
	ds_write2_b64 v19, v[6:7], v[8:9] offset0:8 offset1:251
	ds_write2_b64 v24, v[0:1], v[2:3] offset1:243
	s_and_saveexec_b64 s[12:13], s[2:3]
	s_cbranch_execz .LBB0_37
; %bb.36:
	v_add_u32_e32 v0, 0xffffff5e, v16
	v_cndmask_b32_e64 v0, v0, v17, s[2:3]
	v_lshlrev_b32_e32 v30, 1, v0
	v_lshl_add_u64 v[0:1], v[30:31], 3, s[8:9]
	v_add_co_u32_e32 v0, vcc, 0x1000, v0
	v_mov_b32_e32 v4, v21
	s_nop 0
	v_addc_co_u32_e32 v1, vcc, 0, v1, vcc
	global_load_dwordx4 v[0:3], v[0:1], off offset:1064
	v_mov_b32_e32 v6, v27
	v_mov_b32_e32 v23, v25
	s_waitcnt vmcnt(0)
	v_pk_mul_f32 v[4:5], v[4:5], v[2:3] op_sel_hi:[0,1]
	v_pk_mul_f32 v[6:7], v[6:7], v[0:1] op_sel_hi:[0,1]
	v_pk_fma_f32 v[8:9], v[28:29], v[0:1], v[6:7] op_sel:[0,0,1] op_sel_hi:[1,1,0]
	v_pk_fma_f32 v[0:1], v[28:29], v[0:1], v[6:7] op_sel:[0,0,1] op_sel_hi:[0,1,0] neg_lo:[1,0,0] neg_hi:[1,0,0]
	v_pk_fma_f32 v[6:7], v[18:19], v[2:3], v[4:5] op_sel:[0,0,1] op_sel_hi:[1,1,0]
	v_pk_fma_f32 v[2:3], v[18:19], v[2:3], v[4:5] op_sel:[0,0,1] op_sel_hi:[0,1,0] neg_lo:[1,0,0] neg_hi:[1,0,0]
	v_mov_b32_e32 v9, v1
	v_mov_b32_e32 v7, v3
	v_pk_add_f32 v[0:1], v[22:23], v[8:9]
	v_pk_add_f32 v[2:3], v[8:9], v[6:7]
	v_pk_add_f32 v[4:5], v[8:9], v[6:7] neg_lo:[0,1] neg_hi:[0,1]
	v_pk_add_f32 v[0:1], v[0:1], v[6:7]
	v_pk_fma_f32 v[2:3], -0.5, v[2:3], v[22:23] op_sel_hi:[0,1,1]
	v_pk_mul_f32 v[4:5], v[4:5], s[4:5] op_sel_hi:[1,0]
	ds_write_b64 v32, v[0:1] offset:3888
	v_pk_add_f32 v[0:1], v[2:3], v[4:5] op_sel:[0,1] op_sel_hi:[1,0] neg_lo:[0,1] neg_hi:[0,1]
	v_pk_add_f32 v[2:3], v[2:3], v[4:5] op_sel:[0,1] op_sel_hi:[1,0]
	v_mov_b32_e32 v4, v0
	v_mov_b32_e32 v5, v3
	;; [unrolled: 1-line block ×3, first 2 shown]
	ds_write_b64 v32, v[4:5] offset:9072
	ds_write_b64 v32, v[2:3] offset:14256
.LBB0_37:
	s_or_b64 exec, exec, s[12:13]
	s_waitcnt lgkmcnt(0)
	s_barrier
	s_and_saveexec_b64 s[2:3], s[0:1]
	s_cbranch_execz .LBB0_39
; %bb.38:
	v_mul_lo_u32 v0, s11, v14
	v_mul_lo_u32 v1, s10, v15
	v_mad_u64_u32 v[4:5], s[0:1], s10, v14, 0
	v_lshl_add_u32 v10, v16, 3, 0
	v_add3_u32 v5, v5, v1, v0
	ds_read2_b64 v[0:3], v10 offset1:243
	v_lshl_add_u64 v[4:5], v[4:5], 3, s[6:7]
	v_mov_b32_e32 v17, 0
	v_lshl_add_u64 v[8:9], v[12:13], 3, v[4:5]
	v_lshl_add_u64 v[4:5], v[16:17], 3, v[8:9]
	s_waitcnt lgkmcnt(0)
	global_store_dwordx2 v[4:5], v[0:1], off
	v_add_u32_e32 v4, 0xf00, v10
	ds_read2_b64 v[4:7], v4 offset0:6 offset1:249
	v_add_u32_e32 v0, 0xf3, v16
	v_mov_b32_e32 v1, v17
	v_lshl_add_u64 v[0:1], v[0:1], 3, v[8:9]
	global_store_dwordx2 v[0:1], v[2:3], off
	v_add_u32_e32 v0, 0x1e6, v16
	v_mov_b32_e32 v1, v17
	v_lshl_add_u64 v[0:1], v[0:1], 3, v[8:9]
	s_waitcnt lgkmcnt(0)
	global_store_dwordx2 v[0:1], v[4:5], off
	v_add_u32_e32 v0, 0x2d9, v16
	v_mov_b32_e32 v1, v17
	v_lshl_add_u64 v[4:5], v[0:1], 3, v[8:9]
	v_add_u32_e32 v0, 0x1e00, v10
	ds_read2_b64 v[0:3], v0 offset0:12 offset1:255
	global_store_dwordx2 v[4:5], v[6:7], off
	v_add_u32_e32 v4, 0x3cc, v16
	v_mov_b32_e32 v5, v17
	v_lshl_add_u64 v[4:5], v[4:5], 3, v[8:9]
	s_waitcnt lgkmcnt(0)
	global_store_dwordx2 v[4:5], v[0:1], off
	v_add_u32_e32 v4, 0x2d80, v10
	ds_read2_b64 v[4:7], v4 offset0:2 offset1:245
	v_add_u32_e32 v0, 0x4bf, v16
	v_mov_b32_e32 v1, v17
	v_lshl_add_u64 v[0:1], v[0:1], 3, v[8:9]
	global_store_dwordx2 v[0:1], v[2:3], off
	v_add_u32_e32 v0, 0x5b2, v16
	v_mov_b32_e32 v1, v17
	v_lshl_add_u64 v[0:1], v[0:1], 3, v[8:9]
	v_add_u32_e32 v16, 0x6a5, v16
	s_waitcnt lgkmcnt(0)
	global_store_dwordx2 v[0:1], v[4:5], off
	v_lshl_add_u64 v[0:1], v[16:17], 3, v[8:9]
	global_store_dwordx2 v[0:1], v[6:7], off
.LBB0_39:
	s_endpgm
	.section	.rodata,"a",@progbits
	.p2align	6, 0x0
	.amdhsa_kernel fft_rtc_back_len1944_factors_3_3_3_3_8_3_wgs_243_tpt_243_halfLds_sp_op_CI_CI_unitstride_sbrr_C2R_dirReg
		.amdhsa_group_segment_fixed_size 0
		.amdhsa_private_segment_fixed_size 0
		.amdhsa_kernarg_size 104
		.amdhsa_user_sgpr_count 2
		.amdhsa_user_sgpr_dispatch_ptr 0
		.amdhsa_user_sgpr_queue_ptr 0
		.amdhsa_user_sgpr_kernarg_segment_ptr 1
		.amdhsa_user_sgpr_dispatch_id 0
		.amdhsa_user_sgpr_kernarg_preload_length 0
		.amdhsa_user_sgpr_kernarg_preload_offset 0
		.amdhsa_user_sgpr_private_segment_size 0
		.amdhsa_uses_dynamic_stack 0
		.amdhsa_enable_private_segment 0
		.amdhsa_system_sgpr_workgroup_id_x 1
		.amdhsa_system_sgpr_workgroup_id_y 0
		.amdhsa_system_sgpr_workgroup_id_z 0
		.amdhsa_system_sgpr_workgroup_info 0
		.amdhsa_system_vgpr_workitem_id 0
		.amdhsa_next_free_vgpr 64
		.amdhsa_next_free_sgpr 28
		.amdhsa_accum_offset 64
		.amdhsa_reserve_vcc 1
		.amdhsa_float_round_mode_32 0
		.amdhsa_float_round_mode_16_64 0
		.amdhsa_float_denorm_mode_32 3
		.amdhsa_float_denorm_mode_16_64 3
		.amdhsa_dx10_clamp 1
		.amdhsa_ieee_mode 1
		.amdhsa_fp16_overflow 0
		.amdhsa_tg_split 0
		.amdhsa_exception_fp_ieee_invalid_op 0
		.amdhsa_exception_fp_denorm_src 0
		.amdhsa_exception_fp_ieee_div_zero 0
		.amdhsa_exception_fp_ieee_overflow 0
		.amdhsa_exception_fp_ieee_underflow 0
		.amdhsa_exception_fp_ieee_inexact 0
		.amdhsa_exception_int_div_zero 0
	.end_amdhsa_kernel
	.text
.Lfunc_end0:
	.size	fft_rtc_back_len1944_factors_3_3_3_3_8_3_wgs_243_tpt_243_halfLds_sp_op_CI_CI_unitstride_sbrr_C2R_dirReg, .Lfunc_end0-fft_rtc_back_len1944_factors_3_3_3_3_8_3_wgs_243_tpt_243_halfLds_sp_op_CI_CI_unitstride_sbrr_C2R_dirReg
                                        ; -- End function
	.section	.AMDGPU.csdata,"",@progbits
; Kernel info:
; codeLenInByte = 7028
; NumSgprs: 34
; NumVgprs: 64
; NumAgprs: 0
; TotalNumVgprs: 64
; ScratchSize: 0
; MemoryBound: 0
; FloatMode: 240
; IeeeMode: 1
; LDSByteSize: 0 bytes/workgroup (compile time only)
; SGPRBlocks: 4
; VGPRBlocks: 7
; NumSGPRsForWavesPerEU: 34
; NumVGPRsForWavesPerEU: 64
; AccumOffset: 64
; Occupancy: 8
; WaveLimiterHint : 1
; COMPUTE_PGM_RSRC2:SCRATCH_EN: 0
; COMPUTE_PGM_RSRC2:USER_SGPR: 2
; COMPUTE_PGM_RSRC2:TRAP_HANDLER: 0
; COMPUTE_PGM_RSRC2:TGID_X_EN: 1
; COMPUTE_PGM_RSRC2:TGID_Y_EN: 0
; COMPUTE_PGM_RSRC2:TGID_Z_EN: 0
; COMPUTE_PGM_RSRC2:TIDIG_COMP_CNT: 0
; COMPUTE_PGM_RSRC3_GFX90A:ACCUM_OFFSET: 15
; COMPUTE_PGM_RSRC3_GFX90A:TG_SPLIT: 0
	.text
	.p2alignl 6, 3212836864
	.fill 256, 4, 3212836864
	.type	__hip_cuid_a549ff78e2cedd54,@object ; @__hip_cuid_a549ff78e2cedd54
	.section	.bss,"aw",@nobits
	.globl	__hip_cuid_a549ff78e2cedd54
__hip_cuid_a549ff78e2cedd54:
	.byte	0                               ; 0x0
	.size	__hip_cuid_a549ff78e2cedd54, 1

	.ident	"AMD clang version 19.0.0git (https://github.com/RadeonOpenCompute/llvm-project roc-6.4.0 25133 c7fe45cf4b819c5991fe208aaa96edf142730f1d)"
	.section	".note.GNU-stack","",@progbits
	.addrsig
	.addrsig_sym __hip_cuid_a549ff78e2cedd54
	.amdgpu_metadata
---
amdhsa.kernels:
  - .agpr_count:     0
    .args:
      - .actual_access:  read_only
        .address_space:  global
        .offset:         0
        .size:           8
        .value_kind:     global_buffer
      - .offset:         8
        .size:           8
        .value_kind:     by_value
      - .actual_access:  read_only
        .address_space:  global
        .offset:         16
        .size:           8
        .value_kind:     global_buffer
      - .actual_access:  read_only
        .address_space:  global
        .offset:         24
        .size:           8
        .value_kind:     global_buffer
      - .actual_access:  read_only
        .address_space:  global
        .offset:         32
        .size:           8
        .value_kind:     global_buffer
      - .offset:         40
        .size:           8
        .value_kind:     by_value
      - .actual_access:  read_only
        .address_space:  global
        .offset:         48
        .size:           8
        .value_kind:     global_buffer
      - .actual_access:  read_only
        .address_space:  global
        .offset:         56
        .size:           8
        .value_kind:     global_buffer
      - .offset:         64
        .size:           4
        .value_kind:     by_value
      - .actual_access:  read_only
        .address_space:  global
        .offset:         72
        .size:           8
        .value_kind:     global_buffer
      - .actual_access:  read_only
        .address_space:  global
        .offset:         80
        .size:           8
        .value_kind:     global_buffer
      - .actual_access:  read_only
        .address_space:  global
        .offset:         88
        .size:           8
        .value_kind:     global_buffer
      - .actual_access:  write_only
        .address_space:  global
        .offset:         96
        .size:           8
        .value_kind:     global_buffer
    .group_segment_fixed_size: 0
    .kernarg_segment_align: 8
    .kernarg_segment_size: 104
    .language:       OpenCL C
    .language_version:
      - 2
      - 0
    .max_flat_workgroup_size: 243
    .name:           fft_rtc_back_len1944_factors_3_3_3_3_8_3_wgs_243_tpt_243_halfLds_sp_op_CI_CI_unitstride_sbrr_C2R_dirReg
    .private_segment_fixed_size: 0
    .sgpr_count:     34
    .sgpr_spill_count: 0
    .symbol:         fft_rtc_back_len1944_factors_3_3_3_3_8_3_wgs_243_tpt_243_halfLds_sp_op_CI_CI_unitstride_sbrr_C2R_dirReg.kd
    .uniform_work_group_size: 1
    .uses_dynamic_stack: false
    .vgpr_count:     64
    .vgpr_spill_count: 0
    .wavefront_size: 64
amdhsa.target:   amdgcn-amd-amdhsa--gfx950
amdhsa.version:
  - 1
  - 2
...

	.end_amdgpu_metadata
